;; amdgpu-corpus repo=vllm-project/vllm kind=triton arch=gfx90a opt=O3 lang=triton
	.amdgcn_target "amdgcn-amd-amdhsa--gfx90a"
	.amdhsa_code_object_version 5
	.text
	.globl	fused_moe_kernel                ; -- Begin function fused_moe_kernel
	.p2align	8
	.type	fused_moe_kernel,@function
fused_moe_kernel:                       ; @fused_moe_kernel
.Lfunc_begin0:
	.cfi_sections .debug_frame
	.cfi_startproc
; %bb.105:
	.file	1 "/root/src/amdgpu-assembly/repos/vllm-project__vllm/triton_aot_kernels" "fused_moe_aot.py"
	.loc	1 27 0 prologue_end             ; fused_moe_aot.py:27:0
	s_load_dwordx2 s[6:7], s[4:5], 0x0
	s_load_dwordx8 s[8:15], s[4:5], 0x8
	s_waitcnt lgkmcnt(0)
	s_branch .LBB0_0
	.loc	1 0 0 is_stmt 0                 ; :0:0
.Ltmp0:
	.p2align	8
; %bb.106:
.LBB0_0:
	s_load_dword s36, s[4:5], 0x50
	s_load_dword s0, s[4:5], 0x58
.Ltmp1:
	.loc	1 117 22 is_stmt 1              ; fused_moe_aot.py:117:22
	s_abs_i32 s12, s16
.Ltmp2:
	.file	2 "/root/.local/lib/python3.13/site-packages/triton/language" "standard.py"
	.loc	2 43 17                         ; standard.py:43:17 @[ fused_moe_aot.py:115:27 ]
	s_waitcnt lgkmcnt(0)
	s_add_i32 s1, s36, 63
	.loc	2 43 30 is_stmt 0               ; standard.py:43:30 @[ fused_moe_aot.py:115:27 ]
	s_ashr_i32 s2, s1, 31
	s_lshr_b32 s2, s2, 26
	s_add_i32 s1, s1, s2
	s_ashr_i32 s1, s1, 6
.Ltmp3:
	.loc	1 116 38 is_stmt 1              ; fused_moe_aot.py:116:38
	s_lshl_b32 s2, s1, 3
	.loc	1 117 22                        ; fused_moe_aot.py:117:22
	s_abs_i32 s1, s2
	v_cvt_f32_u32_e32 v1, s1
	s_sub_i32 s13, 0, s1
.Ltmp4:
	.loc	2 43 17                         ; standard.py:43:17 @[ fused_moe_aot.py:114:28 ]
	s_add_i32 s0, s0, 63
	.loc	2 43 30 is_stmt 0               ; standard.py:43:30 @[ fused_moe_aot.py:114:28 ]
	s_ashr_i32 s3, s0, 31
.Ltmp5:
	.loc	1 117 22 is_stmt 1              ; fused_moe_aot.py:117:22
	v_rcp_iflag_f32_e32 v1, v1
.Ltmp6:
	.loc	2 43 30                         ; standard.py:43:30 @[ fused_moe_aot.py:114:28 ]
	s_lshr_b32 s3, s3, 26
	s_add_i32 s0, s0, s3
.Ltmp7:
	.loc	1 117 22                        ; fused_moe_aot.py:117:22
	s_xor_b32 s3, s16, s2
	v_mul_f32_e32 v1, 0x4f7ffffe, v1
	v_cvt_u32_f32_e32 v1, v1
.Ltmp8:
	.loc	2 43 30                         ; standard.py:43:30 @[ fused_moe_aot.py:114:28 ]
	s_ashr_i32 s0, s0, 6
.Ltmp9:
	.loc	1 117 22                        ; fused_moe_aot.py:117:22
	s_ashr_i32 s3, s3, 31
	v_readfirstlane_b32 s14, v1
	s_mul_i32 s13, s13, s14
	s_mul_hi_u32 s13, s14, s13
	s_add_i32 s14, s14, s13
	s_mul_hi_u32 s13, s12, s14
	s_mul_i32 s14, s13, s1
	s_sub_i32 s12, s12, s14
	s_add_i32 s14, s13, 1
	s_sub_i32 s15, s12, s1
	s_cmp_ge_u32 s12, s1
	s_cselect_b32 s13, s14, s13
	s_cselect_b32 s12, s15, s12
	s_add_i32 s14, s13, 1
	s_cmp_ge_u32 s12, s1
	s_cselect_b32 s1, s14, s13
	s_xor_b32 s1, s1, s3
	s_sub_i32 s3, s1, s3
	.loc	1 118 29                        ; fused_moe_aot.py:118:29
	s_lshl_b32 s12, s3, 3
	.loc	1 119 35                        ; fused_moe_aot.py:119:35
	s_sub_i32 s0, s0, s12
	.loc	1 119 48 is_stmt 0              ; fused_moe_aot.py:119:48
	s_min_i32 s13, s0, 8
	.loc	1 121 40 is_stmt 1              ; fused_moe_aot.py:121:40
	s_abs_i32 s14, s13
	v_cvt_f32_u32_e32 v1, s14
	.loc	1 120 34                        ; fused_moe_aot.py:120:34
	s_mul_i32 s3, s3, s2
	s_sub_i32 s2, s16, s3
	.loc	1 121 40                        ; fused_moe_aot.py:121:40
	s_sub_i32 s16, 0, s14
	v_rcp_iflag_f32_e32 v1, v1
	s_abs_i32 s15, s2
	s_xor_b32 s3, s2, s13
	s_ashr_i32 s3, s3, 31
	v_mul_f32_e32 v1, 0x4f7ffffe, v1
	v_cvt_u32_f32_e32 v1, v1
	s_load_dwordx2 s[0:1], s[4:5], 0x48
	v_readfirstlane_b32 s17, v1
	s_mul_i32 s16, s16, s17
	s_mul_hi_u32 s16, s17, s16
	s_add_i32 s17, s17, s16
	s_mul_hi_u32 s16, s15, s17
	s_mul_i32 s17, s16, s14
	s_sub_i32 s15, s15, s17
	s_add_i32 s17, s16, 1
	s_sub_i32 s18, s15, s14
	s_cmp_ge_u32 s15, s14
	s_cselect_b32 s16, s17, s16
	s_cselect_b32 s15, s18, s15
	s_add_i32 s17, s16, 1
	s_cmp_ge_u32 s15, s14
	s_cselect_b32 s14, s17, s16
	s_xor_b32 s14, s14, s3
	s_sub_i32 s37, s14, s3
	.loc	1 130 37                        ; fused_moe_aot.py:130:37
	s_waitcnt lgkmcnt(0)
	s_load_dword s1, s[0:1], 0x0
	.loc	1 120 54                        ; fused_moe_aot.py:120:54
	s_mul_i32 s0, s37, s13
	s_sub_i32 s0, s2, s0
	.loc	1 120 27 is_stmt 0              ; fused_moe_aot.py:120:27
	s_add_i32 s0, s0, s12
	.loc	1 131 15 is_stmt 1              ; fused_moe_aot.py:131:15
	s_lshl_b32 s2, s0, 6
	.loc	1 131 31 is_stmt 0              ; fused_moe_aot.py:131:31
	s_waitcnt lgkmcnt(0)
	s_cmp_lt_i32 s2, s1
	s_cbranch_scc0 .LBB0_72
; %bb.1:
	.loc	1 0 31                          ; fused_moe_aot.py:0:31
	s_load_dwordx4 s[12:15], s[4:5], 0x38
	s_load_dword s33, s[4:5], 0x5c
	.loc	1 134 47 is_stmt 1              ; fused_moe_aot.py:134:47
	s_ashr_i32 s3, s2, 31
	.loc	1 135 52                        ; fused_moe_aot.py:135:52
	s_lshl_b64 s[2:3], s[2:3], 2
	.loc	1 129 24                        ; fused_moe_aot.py:129:24
	v_lshrrev_b32_e32 v35, 6, v0
	.loc	1 135 52                        ; fused_moe_aot.py:135:52
	s_waitcnt lgkmcnt(0)
	s_add_u32 s26, s12, s2
	s_addc_u32 s27, s13, s3
	.loc	1 148 43                        ; fused_moe_aot.py:148:43
	s_ashr_i32 s1, s0, 31
	s_lshl_b64 s[0:1], s[0:1], 2
	s_add_u32 s2, s14, s0
	s_addc_u32 s3, s15, s1
	.loc	1 148 26 is_stmt 0              ; fused_moe_aot.py:148:26
	s_load_dword s0, s[2:3], 0x0
	s_load_dwordx2 s[24:25], s[4:5], 0x74
	.loc	1 129 24 is_stmt 1              ; fused_moe_aot.py:129:24
	v_and_b32_e32 v18, 63, v0
	.loc	1 149 22                        ; fused_moe_aot.py:149:22
	s_waitcnt lgkmcnt(0)
	s_cmp_lg_u32 s0, -1
	s_cbranch_scc0 .LBB0_73
; %bb.2:
	.loc	1 129 24                        ; fused_moe_aot.py:129:24
	v_and_b32_e32 v40, 0x80, v0
	v_and_b32_e32 v58, 31, v0
	v_lshrrev_b32_e32 v1, 2, v40
	v_or_b32_e32 v1, v1, v58
	.loc	1 135 52                        ; fused_moe_aot.py:135:52
	v_lshlrev_b32_e32 v1, 2, v1
	.loc	1 135 29 is_stmt 0              ; fused_moe_aot.py:135:29
	global_load_dword v20, v1, s[26:27]
	s_load_dword s39, s[4:5], 0x54
	s_load_dwordx2 s[28:29], s[4:5], 0x30
	.loc	1 167 23 is_stmt 1              ; fused_moe_aot.py:167:23
	s_lshl_b32 s38, s37, 6
	.loc	1 129 24                        ; fused_moe_aot.py:129:24
	v_and_b32_e32 v37, 32, v0
	v_and_b32_e32 v39, 64, v0
.Ltmp10:
	.loc	2 43 17                         ; standard.py:43:17 @[ fused_moe_aot.py:215:33 ]
	s_waitcnt lgkmcnt(0)
	s_add_i32 s1, s39, 31
.Ltmp11:
	.loc	1 215 22                        ; fused_moe_aot.py:215:22
	s_cmp_lt_i32 s1, 32
	v_mov_b32_e32 v17, 0
	v_mov_b32_e32 v16, 0
	;; [unrolled: 1-line block ×16, first 2 shown]
	s_cbranch_scc1 .LBB0_37
; %bb.3:                                ; %.lr.ph
	.loc	1 129 24                        ; fused_moe_aot.py:129:24
	v_lshrrev_b32_e32 v1, 3, v0
	v_and_b32_e32 v1, 28, v1
	.loc	1 135 52                        ; fused_moe_aot.py:135:52
	v_or_b32_e32 v2, 0x60, v1
	v_or_b32_e32 v3, 0xe0, v1
	.loc	1 135 29 is_stmt 0              ; fused_moe_aot.py:135:29
	global_load_dword v8, v1, s[26:27]
	global_load_dword v9, v1, s[26:27] offset:32
	global_load_dword v10, v1, s[26:27] offset:64
	global_load_dword v11, v2, s[26:27]
	global_load_dword v12, v1, s[26:27] offset:128
	global_load_dword v13, v1, s[26:27] offset:160
	global_load_dword v14, v3, s[26:27]
	global_load_dword v15, v1, s[26:27] offset:192
	s_load_dword s2, s[4:5], 0x70
	s_load_dwordx4 s[20:23], s[4:5], 0x60
.Ltmp12:
	.loc	2 43 30 is_stmt 1               ; standard.py:43:30 @[ fused_moe_aot.py:215:33 ]
	s_ashr_i32 s3, s1, 31
	s_lshr_b32 s3, s3, 27
	s_add_i32 s1, s1, s3
	s_ashr_i32 s40, s1, 5
.Ltmp13:
	.loc	1 175 24                        ; fused_moe_aot.py:175:24
	s_waitcnt lgkmcnt(0)
	s_mul_hi_i32 s1, s0, s22
	s_mul_i32 s0, s0, s22
	.loc	1 247 33                        ; fused_moe_aot.py:247:33
	s_lshl_b32 s34, s23, 5
	.loc	1 246 33                        ; fused_moe_aot.py:246:33
	s_lshl_b32 s30, s21, 5
	.loc	1 175 10                        ; fused_moe_aot.py:175:10
	s_lshl_b64 s[0:1], s[0:1], 1
	s_add_u32 s3, s8, s0
	s_addc_u32 s0, s9, s1
	.loc	1 167 81                        ; fused_moe_aot.py:167:81
	s_abs_i32 s1, s36
	v_cvt_f32_u32_e32 v3, s1
	s_sub_i32 s5, 0, s1
	.loc	1 167 38 is_stmt 0              ; fused_moe_aot.py:167:38
	v_or_b32_e32 v1, s38, v18
	.loc	1 167 81                        ; fused_moe_aot.py:167:81
	v_sub_u32_e32 v2, 0, v1
	v_rcp_iflag_f32_e32 v6, v3
	v_max_i32_e32 v1, v2, v1
	s_ashr_i32 s4, s38, 31
	.loc	1 176 11 is_stmt 1              ; fused_moe_aot.py:176:11
	v_mov_b32_e32 v19, s0
	.loc	1 167 81                        ; fused_moe_aot.py:167:81
	v_mul_f32_e32 v6, 0x4f7ffffe, v6
	v_cvt_u32_f32_e32 v6, v6
	.loc	1 170 8                         ; fused_moe_aot.py:170:8
	v_mov_b32_e32 v17, s7
	v_and_b32_e32 v16, 0xc0, v0
	.loc	1 129 24                        ; fused_moe_aot.py:129:24
	v_or_b32_e32 v62, 28, v35
	.loc	1 167 81                        ; fused_moe_aot.py:167:81
	v_mul_lo_u32 v7, s5, v6
	v_mul_hi_u32 v7, v6, v7
	v_add_u32_e32 v6, v6, v7
	v_mul_hi_u32 v6, v1, v6
	v_mul_lo_u32 v6, v6, s1
	v_sub_u32_e32 v1, v1, v6
	v_subrev_u32_e32 v6, s1, v1
	v_cmp_le_u32_e32 vcc, s1, v1
	v_cndmask_b32_e32 v1, v1, v6, vcc
	v_subrev_u32_e32 v6, s1, v1
	v_cmp_le_u32_e32 vcc, s1, v1
	v_cndmask_b32_e32 v1, v1, v6, vcc
	v_xor_b32_e32 v1, s4, v1
	v_subrev_u32_e32 v1, s4, v1
	.loc	1 176 60                        ; fused_moe_aot.py:176:60
	v_mad_i64_i32 v[6:7], s[0:1], v1, s2, 0
	.loc	1 176 11 is_stmt 0              ; fused_moe_aot.py:176:11
	v_lshlrev_b64 v[6:7], 1, v[6:7]
	v_add_co_u32_e32 v22, vcc, s3, v6
	v_addc_co_u32_e32 v1, vcc, v19, v7, vcc
	.loc	1 129 24 is_stmt 1              ; fused_moe_aot.py:129:24
	v_or_b32_e32 v61, 24, v35
	v_or_b32_e32 v60, 20, v35
	;; [unrolled: 1-line block ×3, first 2 shown]
	.loc	1 176 29                        ; fused_moe_aot.py:176:29
	v_mul_lo_u32 v2, s23, v35
	.loc	1 176 41 is_stmt 0              ; fused_moe_aot.py:176:41
	v_ashrrev_i32_e32 v3, 31, v2
	.loc	1 129 24 is_stmt 1              ; fused_moe_aot.py:129:24
	v_or_b32_e32 v63, 8, v35
	.loc	1 215 22                        ; fused_moe_aot.py:215:22
	v_lshlrev_b64 v[54:55], 1, v[2:3]
	.loc	1 170 69                        ; fused_moe_aot.py:170:69
	v_mul_lo_u32 v4, s21, v58
	.loc	1 129 24                        ; fused_moe_aot.py:129:24
	v_or_b32_e32 v64, 4, v35
	.loc	1 170 51                        ; fused_moe_aot.py:170:51
	v_ashrrev_i32_e32 v5, 31, v4
	s_ashr_i32 s31, s30, 31
	s_ashr_i32 s35, s34, 31
	.loc	1 215 22                        ; fused_moe_aot.py:215:22
	v_lshlrev_b64 v[56:57], 1, v[4:5]
	.loc	1 146 30                        ; fused_moe_aot.py:146:30
	s_waitcnt vmcnt(7)
	v_cmp_gt_i32_e32 vcc, s33, v8
	s_waitcnt vmcnt(6)
	v_cmp_gt_i32_e64 s[0:1], s33, v9
	s_waitcnt vmcnt(5)
	v_cmp_gt_i32_e64 s[2:3], s33, v10
	;; [unrolled: 2-line block ×5, first 2 shown]
	.loc	1 170 31                        ; fused_moe_aot.py:170:31
	s_waitcnt vmcnt(1)
	v_lshrrev_b32_e32 v6, 31, v14
	s_waitcnt vmcnt(0)
	v_lshrrev_b32_e32 v7, 31, v15
	v_add_u32_e32 v6, v14, v6
	v_add_u32_e32 v7, v15, v7
	v_ashrrev_i32_e32 v6, 1, v6
	.loc	1 146 30                        ; fused_moe_aot.py:146:30
	v_cmp_gt_i32_e64 s[14:15], s33, v14
	.loc	1 170 31                        ; fused_moe_aot.py:170:31
	v_ashrrev_i32_e32 v14, 1, v7
	.loc	1 170 39 is_stmt 0              ; fused_moe_aot.py:170:39
	v_mad_i64_i32 v[6:7], s[18:19], v6, s20, 0
	.loc	1 170 8                         ; fused_moe_aot.py:170:8
	v_lshlrev_b64 v[6:7], 1, v[6:7]
	v_add_co_u32_e64 v24, s[18:19], s6, v6
	v_addc_co_u32_e64 v19, s[18:19], v17, v7, s[18:19]
	.loc	1 170 39                        ; fused_moe_aot.py:170:39
	v_mad_i64_i32 v[6:7], s[18:19], v14, s20, 0
	.loc	1 170 8                         ; fused_moe_aot.py:170:8
	v_lshlrev_b64 v[6:7], 1, v[6:7]
	v_add_co_u32_e64 v26, s[18:19], s6, v6
	.loc	1 170 31                        ; fused_moe_aot.py:170:31
	v_lshrrev_b32_e32 v6, 31, v13
	v_add_u32_e32 v6, v13, v6
	.loc	1 170 8                         ; fused_moe_aot.py:170:8
	v_mov_b32_e32 v14, s7
	.loc	1 170 31                        ; fused_moe_aot.py:170:31
	v_ashrrev_i32_e32 v6, 1, v6
	.loc	1 170 8                         ; fused_moe_aot.py:170:8
	v_addc_co_u32_e64 v21, s[18:19], v14, v7, s[18:19]
	.loc	1 170 39                        ; fused_moe_aot.py:170:39
	v_mad_i64_i32 v[6:7], s[18:19], v6, s20, 0
	.loc	1 170 8                         ; fused_moe_aot.py:170:8
	v_lshlrev_b64 v[6:7], 1, v[6:7]
	v_add_co_u32_e64 v28, s[18:19], s6, v6
	.loc	1 170 31                        ; fused_moe_aot.py:170:31
	v_lshrrev_b32_e32 v6, 31, v12
	v_add_u32_e32 v6, v12, v6
	.loc	1 170 8                         ; fused_moe_aot.py:170:8
	v_mov_b32_e32 v13, s7
	.loc	1 170 31                        ; fused_moe_aot.py:170:31
	v_ashrrev_i32_e32 v6, 1, v6
	.loc	1 170 8                         ; fused_moe_aot.py:170:8
	;; [unrolled: 14-line block ×6, first 2 shown]
	v_addc_co_u32_e64 v31, s[18:19], v9, v7, s[18:19]
	.loc	1 170 39                        ; fused_moe_aot.py:170:39
	v_mad_i64_i32 v[6:7], s[18:19], v6, s20, 0
	.loc	1 170 8                         ; fused_moe_aot.py:170:8
	v_lshlrev_b64 v[6:7], 1, v[6:7]
	v_mov_b32_e32 v8, s7
	v_add_co_u32_e64 v38, s[6:7], s6, v6
	v_addc_co_u32_e64 v33, s[6:7], v8, v7, s[6:7]
	v_lshlrev_b32_e32 v8, 1, v0
	v_lshlrev_b32_e32 v0, 2, v0
	v_lshrrev_b32_e32 v6, 3, v16
	v_and_b32_e32 v0, 56, v0
	v_lshrrev_b32_e32 v7, 2, v37
	v_xor_b32_e32 v9, v8, v6
	v_lshlrev_b32_e32 v6, 6, v58
	v_lshlrev_b32_e32 v10, 4, v40
	v_xor_b32_e32 v0, v0, v7
	v_or3_b32 v10, v6, v10, v0
	.loc	1 215 22 is_stmt 1              ; fused_moe_aot.py:215:22
	v_mul_lo_u32 v6, s23, v62
	v_ashrrev_i32_e32 v7, 31, v6
	v_lshlrev_b64 v[40:41], 1, v[6:7]
	v_mul_lo_u32 v6, s23, v61
	v_ashrrev_i32_e32 v7, 31, v6
	v_lshlrev_b64 v[42:43], 1, v[6:7]
	v_mul_lo_u32 v6, s23, v60
	v_ashrrev_i32_e32 v7, 31, v6
	v_lshl_add_u32 v0, v37, 4, 0
	v_lshlrev_b64 v[44:45], 1, v[6:7]
	v_mul_lo_u32 v6, s23, v59
	v_lshl_add_u32 v11, v58, 1, v0
	v_ashrrev_i32_e32 v7, 31, v6
	.loc	1 129 24                        ; fused_moe_aot.py:129:24
	v_or_b32_e32 v0, 12, v35
	.loc	1 215 22                        ; fused_moe_aot.py:215:22
	v_lshlrev_b64 v[46:47], 1, v[6:7]
	v_mul_lo_u32 v6, s23, v0
	v_ashrrev_i32_e32 v7, 31, v6
	v_lshlrev_b64 v[48:49], 1, v[6:7]
	v_mul_lo_u32 v6, s23, v63
	v_xor_b32_e32 v2, 32, v9
	v_ashrrev_i32_e32 v7, 31, v6
	v_add_u32_e32 v66, 0, v2
	v_xor_b32_e32 v2, 16, v10
	v_lshlrev_b64 v[50:51], 1, v[6:7]
	v_mul_lo_u32 v6, s23, v64
	v_xor_b32_e32 v3, 32, v10
	v_add_u32_e32 v68, 0, v2
	v_or_b32_e32 v2, 0x600, v8
	v_ashrrev_i32_e32 v7, 31, v6
	v_xor_b32_e32 v4, 48, v10
	v_add_u32_e32 v69, 0, v3
	v_or_b32_e32 v3, 0xe00, v8
	v_add_u32_e32 v72, 0, v2
	v_mov_b32_e32 v2, 0
	.loc	1 146 30                        ; fused_moe_aot.py:146:30
	v_cmp_gt_i32_e64 s[12:13], s33, v15
	.loc	1 215 22                        ; fused_moe_aot.py:215:22
	s_lshl_b64 s[20:21], s[34:35], 1
	v_lshlrev_b64 v[52:53], 1, v[6:7]
	s_lshl_b64 s[22:23], s[30:31], 1
	v_add_u32_e32 v65, 0, v9
	v_add_u32_e32 v67, 0, v10
	v_add_u32_e32 v70, 0, v4
	v_add_u32_e32 v71, 0, v8
	v_add_u32_e32 v73, 0, v3
	v_add_u32_e32 v74, v11, v39
	s_mov_b32 s34, 0x5040100
	v_mov_b32_e32 v3, v2
	v_mov_b32_e32 v4, v2
	;; [unrolled: 1-line block ×15, first 2 shown]
	s_branch .LBB0_5
.LBB0_4:                                ;   in Loop: Header=BB0_5 Depth=1
	.loc	1 0 22 is_stmt 0                ; fused_moe_aot.py:0:22
	s_or_b64 exec, exec, s[18:19]
	.loc	1 219 12 is_stmt 1              ; fused_moe_aot.py:219:12
	s_waitcnt lgkmcnt(0)
	s_barrier
	s_waitcnt vmcnt(0)
	ds_write_b16 v65, v75
	ds_write_b16 v65, v77 offset:1024
	ds_write_b16 v65, v79 offset:2048
	;; [unrolled: 1-line block ×7, first 2 shown]
	s_waitcnt lgkmcnt(0)
	s_barrier
	ds_read_b64 v[80:81], v67
	ds_read_b64 v[92:93], v68
	ds_read_b64 v[94:95], v69
	ds_read_b64 v[96:97], v70
	.loc	1 223 20                        ; fused_moe_aot.py:223:20
	s_waitcnt lgkmcnt(0)
	s_barrier
	ds_write_b16 v71, v82
	ds_write_b16 v71, v85 offset:512
	ds_write_b16 v71, v84 offset:1024
	ds_write_b16 v72, v87
	ds_write_b16 v71, v86 offset:2048
	ds_write_b16 v71, v89 offset:2560
	;; [unrolled: 1-line block ×3, first 2 shown]
	ds_write_b16 v73, v90
	s_waitcnt lgkmcnt(0)
	s_barrier
	ds_read_u16 v75, v74
	ds_read_u16 v76, v74 offset:256
	ds_read_u16 v77, v74 offset:384
	;; [unrolled: 1-line block ×3, first 2 shown]
	.loc	1 215 22                        ; fused_moe_aot.py:215:22
	v_add_co_u32_e64 v22, s[6:7], s20, v22
	s_add_i32 s40, s40, -1
	.loc	1 244 37                        ; fused_moe_aot.py:244:37
	s_waitcnt lgkmcnt(1)
	v_perm_b32 v77, v77, v76, s34
	s_waitcnt lgkmcnt(0)
	v_perm_b32 v76, v78, v75, s34
	.loc	1 215 22                        ; fused_moe_aot.py:215:22
	s_sub_i32 s39, s39, 32
	s_cmp_lg_u32 s40, 0
	.loc	1 244 37                        ; fused_moe_aot.py:244:37
	v_mfma_f32_32x32x8f16 v[2:17], v[76:77], v[80:81], v[2:17]
	.loc	1 223 20                        ; fused_moe_aot.py:223:20
	ds_read_u16 v75, v74 offset:1024
	ds_read_u16 v76, v74 offset:1280
	;; [unrolled: 1-line block ×4, first 2 shown]
	.loc	1 244 37                        ; fused_moe_aot.py:244:37
	s_waitcnt lgkmcnt(1)
	v_perm_b32 v77, v77, v76, s34
	s_waitcnt lgkmcnt(0)
	v_perm_b32 v76, v78, v75, s34
	s_nop 1
	v_mfma_f32_32x32x8f16 v[2:17], v[76:77], v[92:93], v[2:17]
	.loc	1 223 20                        ; fused_moe_aot.py:223:20
	ds_read_u16 v75, v74 offset:2048
	ds_read_u16 v76, v74 offset:2304
	ds_read_u16 v77, v74 offset:2432
	ds_read_u16 v78, v74 offset:2176
	.loc	1 244 37                        ; fused_moe_aot.py:244:37
	s_waitcnt lgkmcnt(1)
	v_perm_b32 v77, v77, v76, s34
	s_waitcnt lgkmcnt(0)
	v_perm_b32 v76, v78, v75, s34
	s_nop 1
	v_mfma_f32_32x32x8f16 v[2:17], v[76:77], v[94:95], v[2:17]
	.loc	1 223 20                        ; fused_moe_aot.py:223:20
	ds_read_u16 v75, v74 offset:3072
	ds_read_u16 v76, v74 offset:3328
	;; [unrolled: 1-line block ×4, first 2 shown]
	.loc	1 244 37                        ; fused_moe_aot.py:244:37
	s_waitcnt lgkmcnt(1)
	v_perm_b32 v77, v77, v76, s34
	s_waitcnt lgkmcnt(0)
	v_perm_b32 v76, v78, v75, s34
	.loc	1 215 22                        ; fused_moe_aot.py:215:22
	v_mov_b32_e32 v75, s21
	v_addc_co_u32_e64 v1, s[6:7], v1, v75, s[6:7]
	v_mov_b32_e32 v75, s23
	v_add_co_u32_e64 v24, s[6:7], s22, v24
	v_addc_co_u32_e64 v19, s[6:7], v19, v75, s[6:7]
	v_add_co_u32_e64 v26, s[6:7], s22, v26
	.loc	1 244 37                        ; fused_moe_aot.py:244:37
	v_mfma_f32_32x32x8f16 v[2:17], v[76:77], v[96:97], v[2:17]
	.loc	1 215 22                        ; fused_moe_aot.py:215:22
	v_addc_co_u32_e64 v21, s[6:7], v21, v75, s[6:7]
	v_add_co_u32_e64 v28, s[6:7], s22, v28
	v_addc_co_u32_e64 v23, s[6:7], v23, v75, s[6:7]
	v_add_co_u32_e64 v30, s[6:7], s22, v30
	;; [unrolled: 2-line block ×6, first 2 shown]
	v_addc_co_u32_e64 v33, s[6:7], v33, v75, s[6:7]
	s_cbranch_scc0 .LBB0_37
.LBB0_5:                                ; =>This Inner Loop Header: Depth=1
	.loc	1 220 58                        ; fused_moe_aot.py:220:58
	v_cmp_gt_i32_e64 s[6:7], s39, v58
	.loc	1 220 40 is_stmt 0              ; fused_moe_aot.py:220:40
	s_and_b64 s[18:19], vcc, s[6:7]
	v_mov_b32_e32 v75, 0
	.loc	1 219 12 is_stmt 1              ; fused_moe_aot.py:219:12
	s_and_saveexec_b64 s[30:31], s[18:19]
	s_cbranch_execz .LBB0_7
; %bb.6:                                ;   in Loop: Header=BB0_5 Depth=1
	.loc	1 220 66                        ; fused_moe_aot.py:220:66
	v_add_co_u32_e64 v76, s[18:19], v38, v56
	v_addc_co_u32_e64 v77, s[18:19], v33, v57, s[18:19]
	.loc	1 219 12                        ; fused_moe_aot.py:219:12
	global_load_ushort v75, v[76:77], off
.LBB0_7:                                ;   in Loop: Header=BB0_5 Depth=1
	.loc	1 0 12 is_stmt 0                ; fused_moe_aot.py:0:12
	s_or_b64 exec, exec, s[30:31]
	.loc	1 220 40 is_stmt 1              ; fused_moe_aot.py:220:40
	s_and_b64 s[18:19], s[0:1], s[6:7]
	v_mov_b32_e32 v77, 0
	v_mov_b32_e32 v76, 0
	.loc	1 219 12                        ; fused_moe_aot.py:219:12
	s_and_saveexec_b64 s[30:31], s[18:19]
	s_cbranch_execz .LBB0_9
; %bb.8:                                ;   in Loop: Header=BB0_5 Depth=1
	.loc	1 220 66                        ; fused_moe_aot.py:220:66
	v_add_co_u32_e64 v78, s[18:19], v36, v56
	v_addc_co_u32_e64 v79, s[18:19], v31, v57, s[18:19]
	.loc	1 219 12                        ; fused_moe_aot.py:219:12
	global_load_ushort v76, v[78:79], off
.LBB0_9:                                ;   in Loop: Header=BB0_5 Depth=1
	.loc	1 0 12 is_stmt 0                ; fused_moe_aot.py:0:12
	s_or_b64 exec, exec, s[30:31]
	.loc	1 220 40 is_stmt 1              ; fused_moe_aot.py:220:40
	s_and_b64 s[18:19], s[2:3], s[6:7]
	.loc	1 219 12                        ; fused_moe_aot.py:219:12
	s_and_saveexec_b64 s[30:31], s[18:19]
	s_cbranch_execz .LBB0_11
; %bb.10:                               ;   in Loop: Header=BB0_5 Depth=1
	.loc	1 220 66                        ; fused_moe_aot.py:220:66
	v_add_co_u32_e64 v78, s[18:19], v34, v56
	v_addc_co_u32_e64 v79, s[18:19], v29, v57, s[18:19]
	.loc	1 219 12                        ; fused_moe_aot.py:219:12
	global_load_ushort v77, v[78:79], off
.LBB0_11:                               ;   in Loop: Header=BB0_5 Depth=1
	.loc	1 0 12 is_stmt 0                ; fused_moe_aot.py:0:12
	s_or_b64 exec, exec, s[30:31]
	.loc	1 220 40 is_stmt 1              ; fused_moe_aot.py:220:40
	s_and_b64 s[18:19], s[8:9], s[6:7]
	v_mov_b32_e32 v79, 0
	v_mov_b32_e32 v78, 0
	.loc	1 219 12                        ; fused_moe_aot.py:219:12
	s_and_saveexec_b64 s[30:31], s[18:19]
	s_cbranch_execz .LBB0_13
; %bb.12:                               ;   in Loop: Header=BB0_5 Depth=1
	.loc	1 220 66                        ; fused_moe_aot.py:220:66
	v_add_co_u32_e64 v80, s[18:19], v32, v56
	v_addc_co_u32_e64 v81, s[18:19], v27, v57, s[18:19]
	.loc	1 219 12                        ; fused_moe_aot.py:219:12
	global_load_ushort v78, v[80:81], off
.LBB0_13:                               ;   in Loop: Header=BB0_5 Depth=1
	.loc	1 0 12 is_stmt 0                ; fused_moe_aot.py:0:12
	s_or_b64 exec, exec, s[30:31]
	.loc	1 220 40 is_stmt 1              ; fused_moe_aot.py:220:40
	s_and_b64 s[18:19], s[4:5], s[6:7]
	.loc	1 219 12                        ; fused_moe_aot.py:219:12
	s_and_saveexec_b64 s[30:31], s[18:19]
	s_cbranch_execz .LBB0_15
; %bb.14:                               ;   in Loop: Header=BB0_5 Depth=1
	.loc	1 220 66                        ; fused_moe_aot.py:220:66
	v_add_co_u32_e64 v80, s[18:19], v30, v56
	v_addc_co_u32_e64 v81, s[18:19], v25, v57, s[18:19]
	.loc	1 219 12                        ; fused_moe_aot.py:219:12
	global_load_ushort v79, v[80:81], off
.LBB0_15:                               ;   in Loop: Header=BB0_5 Depth=1
	.loc	1 0 12 is_stmt 0                ; fused_moe_aot.py:0:12
	s_or_b64 exec, exec, s[30:31]
	.loc	1 220 40 is_stmt 1              ; fused_moe_aot.py:220:40
	s_and_b64 s[18:19], s[16:17], s[6:7]
	v_mov_b32_e32 v81, 0
	v_mov_b32_e32 v80, 0
	.loc	1 219 12                        ; fused_moe_aot.py:219:12
	s_and_saveexec_b64 s[30:31], s[18:19]
	s_cbranch_execz .LBB0_17
; %bb.16:                               ;   in Loop: Header=BB0_5 Depth=1
	.loc	1 220 66                        ; fused_moe_aot.py:220:66
	v_add_co_u32_e64 v82, s[18:19], v28, v56
	v_addc_co_u32_e64 v83, s[18:19], v23, v57, s[18:19]
	.loc	1 219 12                        ; fused_moe_aot.py:219:12
	global_load_ushort v80, v[82:83], off
.LBB0_17:                               ;   in Loop: Header=BB0_5 Depth=1
	;; [unrolled: 30-line block ×3, first 2 shown]
	.loc	1 0 12 is_stmt 0                ; fused_moe_aot.py:0:12
	s_or_b64 exec, exec, s[18:19]
	.loc	1 223 51 is_stmt 1              ; fused_moe_aot.py:223:51
	v_cmp_gt_i32_e64 s[6:7], s39, v35
	.loc	1 223 20 is_stmt 0              ; fused_moe_aot.py:223:20
	s_and_saveexec_b64 s[18:19], s[6:7]
	s_cbranch_execz .LBB0_23
; %bb.22:                               ;   in Loop: Header=BB0_5 Depth=1
	.loc	1 220 66 is_stmt 1              ; fused_moe_aot.py:220:66
	v_add_co_u32_e64 v84, s[6:7], v22, v54
	v_addc_co_u32_e64 v85, s[6:7], v1, v55, s[6:7]
	.loc	1 223 20                        ; fused_moe_aot.py:223:20
	global_load_ushort v82, v[84:85], off
.LBB0_23:                               ;   in Loop: Header=BB0_5 Depth=1
	.loc	1 0 20 is_stmt 0                ; fused_moe_aot.py:0:20
	s_or_b64 exec, exec, s[18:19]
	.loc	1 223 51                        ; fused_moe_aot.py:223:51
	v_cmp_gt_i32_e64 s[6:7], s39, v64
	v_mov_b32_e32 v84, 0
	v_mov_b32_e32 v85, 0
	.loc	1 223 20                        ; fused_moe_aot.py:223:20
	s_and_saveexec_b64 s[18:19], s[6:7]
	s_cbranch_execz .LBB0_25
; %bb.24:                               ;   in Loop: Header=BB0_5 Depth=1
	.loc	1 220 66 is_stmt 1              ; fused_moe_aot.py:220:66
	v_add_co_u32_e64 v86, s[6:7], v22, v52
	v_addc_co_u32_e64 v87, s[6:7], v1, v53, s[6:7]
	.loc	1 223 20                        ; fused_moe_aot.py:223:20
	global_load_ushort v85, v[86:87], off
.LBB0_25:                               ;   in Loop: Header=BB0_5 Depth=1
	.loc	1 0 20 is_stmt 0                ; fused_moe_aot.py:0:20
	s_or_b64 exec, exec, s[18:19]
	.loc	1 223 51                        ; fused_moe_aot.py:223:51
	v_cmp_gt_i32_e64 s[6:7], s39, v63
	.loc	1 223 20                        ; fused_moe_aot.py:223:20
	s_and_saveexec_b64 s[18:19], s[6:7]
	s_cbranch_execz .LBB0_27
; %bb.26:                               ;   in Loop: Header=BB0_5 Depth=1
	.loc	1 220 66 is_stmt 1              ; fused_moe_aot.py:220:66
	v_add_co_u32_e64 v86, s[6:7], v22, v50
	v_addc_co_u32_e64 v87, s[6:7], v1, v51, s[6:7]
	.loc	1 223 20                        ; fused_moe_aot.py:223:20
	global_load_ushort v84, v[86:87], off
.LBB0_27:                               ;   in Loop: Header=BB0_5 Depth=1
	.loc	1 0 20 is_stmt 0                ; fused_moe_aot.py:0:20
	s_or_b64 exec, exec, s[18:19]
	.loc	1 223 51                        ; fused_moe_aot.py:223:51
	v_cmp_gt_i32_e64 s[6:7], s39, v0
	v_mov_b32_e32 v86, 0
	v_mov_b32_e32 v87, 0
	.loc	1 223 20                        ; fused_moe_aot.py:223:20
	s_and_saveexec_b64 s[18:19], s[6:7]
	s_cbranch_execz .LBB0_29
; %bb.28:                               ;   in Loop: Header=BB0_5 Depth=1
	.loc	1 220 66 is_stmt 1              ; fused_moe_aot.py:220:66
	v_add_co_u32_e64 v88, s[6:7], v22, v48
	v_addc_co_u32_e64 v89, s[6:7], v1, v49, s[6:7]
	.loc	1 223 20                        ; fused_moe_aot.py:223:20
	global_load_ushort v87, v[88:89], off
.LBB0_29:                               ;   in Loop: Header=BB0_5 Depth=1
	.loc	1 0 20 is_stmt 0                ; fused_moe_aot.py:0:20
	s_or_b64 exec, exec, s[18:19]
	.loc	1 223 51                        ; fused_moe_aot.py:223:51
	v_cmp_gt_i32_e64 s[6:7], s39, v59
	.loc	1 223 20                        ; fused_moe_aot.py:223:20
	;; [unrolled: 30-line block ×3, first 2 shown]
	s_and_saveexec_b64 s[18:19], s[6:7]
	s_cbranch_execz .LBB0_35
; %bb.34:                               ;   in Loop: Header=BB0_5 Depth=1
	.loc	1 220 66 is_stmt 1              ; fused_moe_aot.py:220:66
	v_add_co_u32_e64 v90, s[6:7], v22, v42
	v_addc_co_u32_e64 v91, s[6:7], v1, v43, s[6:7]
	.loc	1 223 20                        ; fused_moe_aot.py:223:20
	global_load_ushort v88, v[90:91], off
.LBB0_35:                               ;   in Loop: Header=BB0_5 Depth=1
	.loc	1 0 20 is_stmt 0                ; fused_moe_aot.py:0:20
	s_or_b64 exec, exec, s[18:19]
	.loc	1 223 51                        ; fused_moe_aot.py:223:51
	v_cmp_gt_i32_e64 s[6:7], s39, v62
	v_mov_b32_e32 v90, 0
	.loc	1 223 20                        ; fused_moe_aot.py:223:20
	s_and_saveexec_b64 s[18:19], s[6:7]
	s_cbranch_execz .LBB0_4
; %bb.36:                               ;   in Loop: Header=BB0_5 Depth=1
	.loc	1 220 66 is_stmt 1              ; fused_moe_aot.py:220:66
	v_add_co_u32_e64 v90, s[6:7], v22, v40
	v_addc_co_u32_e64 v91, s[6:7], v1, v41, s[6:7]
	.loc	1 223 20                        ; fused_moe_aot.py:223:20
	global_load_ushort v90, v[90:91], off
	s_branch .LBB0_4
.LBB0_37:                               ; %._crit_edge
	.loc	1 144 31                        ; fused_moe_aot.py:144:31
	s_waitcnt vmcnt(0)
	v_ashrrev_i32_e32 v21, 31, v20
	.loc	1 146 30                        ; fused_moe_aot.py:146:30
	v_cmp_gt_i32_e32 vcc, s33, v20
	v_mov_b32_e32 v0, 0
	.loc	1 272 12                        ; fused_moe_aot.py:272:12
	s_and_saveexec_b64 s[2:3], vcc
	s_cbranch_execz .LBB0_39
; %bb.38:
	.loc	1 0 12 is_stmt 0                ; fused_moe_aot.py:0:12
	v_lshlrev_b64 v[0:1], 2, v[20:21]
	v_mov_b32_e32 v19, s29
	v_add_co_u32_e64 v0, s[0:1], s28, v0
	v_addc_co_u32_e64 v1, s[0:1], v19, v1, s[0:1]
	.loc	1 272 12                        ; fused_moe_aot.py:272:12
	global_load_dword v0, v[0:1], off
.LBB0_39:
	.loc	1 0 12                          ; fused_moe_aot.py:0:12
	s_or_b64 exec, exec, s[2:3]
	.loc	1 285 33 is_stmt 1              ; fused_moe_aot.py:285:33
	v_mad_i64_i32 v[20:21], s[0:1], v20, s24, 0
	.loc	1 129 24                        ; fused_moe_aot.py:129:24
	v_lshrrev_b32_e32 v1, 3, v37
	v_lshrrev_b32_e32 v19, 1, v39
	.loc	1 285 21                        ; fused_moe_aot.py:285:21
	v_lshlrev_b64 v[20:21], 1, v[20:21]
	.loc	1 284 37                        ; fused_moe_aot.py:284:37
	v_or3_b32 v1, v1, v19, s38
	.loc	1 285 21                        ; fused_moe_aot.py:285:21
	v_mov_b32_e32 v22, s11
	v_add_co_u32_e64 v19, s[0:1], s10, v20
	v_addc_co_u32_e64 v20, s[0:1], v22, v21, s[0:1]
	.loc	1 286 55                        ; fused_moe_aot.py:286:55
	v_cmp_gt_i32_e64 s[0:1], s36, v1
	.loc	1 286 36 is_stmt 0              ; fused_moe_aot.py:286:36
	s_and_b64 s[0:1], s[0:1], vcc
	.loc	1 287 21 is_stmt 1              ; fused_moe_aot.py:287:21
	s_and_saveexec_b64 s[2:3], s[0:1]
	s_cbranch_execz .LBB0_41
; %bb.40:
	.loc	1 285 67                        ; fused_moe_aot.py:285:67
	v_mul_lo_u32 v22, v1, s25
	.loc	1 285 55 is_stmt 0              ; fused_moe_aot.py:285:55
	v_ashrrev_i32_e32 v23, 31, v22
	v_lshlrev_b64 v[22:23], 1, v[22:23]
	v_add_co_u32_e64 v22, s[0:1], v19, v22
	.loc	1 280 33 is_stmt 1              ; fused_moe_aot.py:280:33
	s_waitcnt vmcnt(0)
	v_fma_mixlo_f16 v2, v2, v0, 0
	.loc	1 285 55                        ; fused_moe_aot.py:285:55
	v_addc_co_u32_e64 v23, s[0:1], v20, v23, s[0:1]
	.loc	1 287 21                        ; fused_moe_aot.py:287:21
	global_store_short v[22:23], v2, off
.LBB0_41:
	.loc	1 0 21 is_stmt 0                ; fused_moe_aot.py:0:21
	s_or_b64 exec, exec, s[2:3]
	.loc	1 284 37 is_stmt 1              ; fused_moe_aot.py:284:37
	v_or_b32_e32 v2, 1, v1
	.loc	1 286 55                        ; fused_moe_aot.py:286:55
	v_cmp_gt_i32_e64 s[0:1], s36, v2
	.loc	1 286 36 is_stmt 0              ; fused_moe_aot.py:286:36
	s_and_b64 s[0:1], s[0:1], vcc
	.loc	1 287 21 is_stmt 1              ; fused_moe_aot.py:287:21
	s_and_saveexec_b64 s[2:3], s[0:1]
	s_cbranch_execz .LBB0_43
; %bb.42:
	.loc	1 285 67                        ; fused_moe_aot.py:285:67
	v_mul_lo_u32 v2, v2, s25
	.loc	1 280 33                        ; fused_moe_aot.py:280:33
	s_waitcnt vmcnt(0)
	v_fma_mixlo_f16 v21, v3, v0, 0
	.loc	1 285 55                        ; fused_moe_aot.py:285:55
	v_ashrrev_i32_e32 v3, 31, v2
	v_lshlrev_b64 v[2:3], 1, v[2:3]
	v_add_co_u32_e64 v2, s[0:1], v19, v2
	v_addc_co_u32_e64 v3, s[0:1], v20, v3, s[0:1]
	.loc	1 287 21                        ; fused_moe_aot.py:287:21
	global_store_short v[2:3], v21, off
.LBB0_43:
	.loc	1 0 21 is_stmt 0                ; fused_moe_aot.py:0:21
	s_or_b64 exec, exec, s[2:3]
	.loc	1 284 37 is_stmt 1              ; fused_moe_aot.py:284:37
	v_or_b32_e32 v2, 2, v1
	.loc	1 286 55                        ; fused_moe_aot.py:286:55
	v_cmp_gt_i32_e64 s[0:1], s36, v2
	.loc	1 286 36 is_stmt 0              ; fused_moe_aot.py:286:36
	s_and_b64 s[0:1], s[0:1], vcc
	.loc	1 287 21 is_stmt 1              ; fused_moe_aot.py:287:21
	s_and_saveexec_b64 s[2:3], s[0:1]
	s_cbranch_execz .LBB0_45
; %bb.44:
	.loc	1 285 67                        ; fused_moe_aot.py:285:67
	v_mul_lo_u32 v2, v2, s25
	.loc	1 285 55 is_stmt 0              ; fused_moe_aot.py:285:55
	v_ashrrev_i32_e32 v3, 31, v2
	v_lshlrev_b64 v[2:3], 1, v[2:3]
	v_add_co_u32_e64 v2, s[0:1], v19, v2
	.loc	1 280 33 is_stmt 1              ; fused_moe_aot.py:280:33
	s_waitcnt vmcnt(0)
	v_fma_mixlo_f16 v4, v4, v0, 0
	.loc	1 285 55                        ; fused_moe_aot.py:285:55
	v_addc_co_u32_e64 v3, s[0:1], v20, v3, s[0:1]
	.loc	1 287 21                        ; fused_moe_aot.py:287:21
	global_store_short v[2:3], v4, off
.LBB0_45:
	.loc	1 0 21 is_stmt 0                ; fused_moe_aot.py:0:21
	s_or_b64 exec, exec, s[2:3]
	.loc	1 284 37 is_stmt 1              ; fused_moe_aot.py:284:37
	v_or_b32_e32 v2, 3, v1
	.loc	1 286 55                        ; fused_moe_aot.py:286:55
	v_cmp_gt_i32_e64 s[0:1], s36, v2
	.loc	1 286 36 is_stmt 0              ; fused_moe_aot.py:286:36
	s_and_b64 s[0:1], s[0:1], vcc
	.loc	1 287 21 is_stmt 1              ; fused_moe_aot.py:287:21
	s_and_saveexec_b64 s[2:3], s[0:1]
	s_cbranch_execz .LBB0_47
; %bb.46:
	.loc	1 285 67                        ; fused_moe_aot.py:285:67
	v_mul_lo_u32 v2, v2, s25
	.loc	1 285 55 is_stmt 0              ; fused_moe_aot.py:285:55
	v_ashrrev_i32_e32 v3, 31, v2
	v_lshlrev_b64 v[2:3], 1, v[2:3]
	v_add_co_u32_e64 v2, s[0:1], v19, v2
	.loc	1 280 33 is_stmt 1              ; fused_moe_aot.py:280:33
	s_waitcnt vmcnt(0)
	v_fma_mixlo_f16 v4, v5, v0, 0
	.loc	1 285 55                        ; fused_moe_aot.py:285:55
	v_addc_co_u32_e64 v3, s[0:1], v20, v3, s[0:1]
	.loc	1 287 21                        ; fused_moe_aot.py:287:21
	global_store_short v[2:3], v4, off
.LBB0_47:
	;; [unrolled: 26-line block ×13, first 2 shown]
	.loc	1 0 21 is_stmt 0                ; fused_moe_aot.py:0:21
	s_or_b64 exec, exec, s[2:3]
	.loc	1 284 37 is_stmt 1              ; fused_moe_aot.py:284:37
	v_or_b32_e32 v3, 27, v1
	.loc	1 280 33                        ; fused_moe_aot.py:280:33
	s_waitcnt vmcnt(0)
	v_fma_mixlo_f16 v2, v17, v0, 0
	.loc	1 285 67                        ; fused_moe_aot.py:285:67
	v_mul_lo_u32 v0, v3, s25
	.loc	1 285 55 is_stmt 0              ; fused_moe_aot.py:285:55
	v_ashrrev_i32_e32 v1, 31, v0
	v_lshlrev_b64 v[0:1], 1, v[0:1]
	v_add_co_u32_e64 v0, s[0:1], v19, v0
	v_addc_co_u32_e64 v1, s[0:1], v20, v1, s[0:1]
	.loc	1 286 55 is_stmt 1              ; fused_moe_aot.py:286:55
	v_cmp_gt_i32_e64 s[0:1], s36, v3
	.loc	1 286 36 is_stmt 0              ; fused_moe_aot.py:286:36
	s_and_b64 s[0:1], s[0:1], vcc
.LBB0_70:                               ; %Flow115
	.loc	1 0 36                          ; fused_moe_aot.py:0:36
	s_and_saveexec_b64 s[2:3], s[0:1]
	s_xor_b64 s[2:3], exec, s[2:3]
	s_cbranch_execz .LBB0_72
.LBB0_71:
.Ltmp14:
	.loc	1 24 21 is_stmt 1               ; fused_moe_aot.py:24:21 @[ fused_moe_aot.py:163:12 ]
	global_store_short v[0:1], v2, off
.Ltmp15:
.LBB0_72:
	.loc	1 132 8                         ; fused_moe_aot.py:132:8
	s_endpgm
.LBB0_73:
	.loc	1 0 8 is_stmt 0                 ; fused_moe_aot.py:0:8
	s_mov_b64 s[0:1], 0
                                        ; implicit-def: $vgpr0_vgpr1
                                        ; implicit-def: $vgpr2
	s_cbranch_execz .LBB0_70
; %bb.74:
	.loc	1 135 52 is_stmt 1              ; fused_moe_aot.py:135:52
	v_lshlrev_b32_e32 v0, 2, v35
	.loc	1 135 29 is_stmt 0              ; fused_moe_aot.py:135:29
	global_load_dword v10, v0, s[26:27] offset:112
	global_load_dword v11, v0, s[26:27] offset:96
	;; [unrolled: 1-line block ×7, first 2 shown]
	global_load_dword v17, v0, s[26:27]
	global_load_dword v2, v0, s[26:27] offset:240
	global_load_dword v3, v0, s[26:27] offset:224
	;; [unrolled: 1-line block ×8, first 2 shown]
.Ltmp16:
	.loc	1 21 37 is_stmt 1               ; fused_moe_aot.py:21:37 @[ fused_moe_aot.py:163:12 ]
	v_lshl_or_b32 v1, s37, 6, v18
	.loc	1 22 67                         ; fused_moe_aot.py:22:67 @[ fused_moe_aot.py:163:12 ]
	v_mul_lo_u32 v0, v1, s25
	.loc	1 23 55                         ; fused_moe_aot.py:23:55 @[ fused_moe_aot.py:163:12 ]
	v_cmp_gt_i32_e32 vcc, s36, v1
	.loc	1 22 55                         ; fused_moe_aot.py:22:55 @[ fused_moe_aot.py:163:12 ]
	v_ashrrev_i32_e32 v1, 31, v0
	v_lshlrev_b64 v[0:1], 1, v[0:1]
.Ltmp17:
	.loc	1 146 30                        ; fused_moe_aot.py:146:30
	s_waitcnt vmcnt(8)
	v_cmp_gt_i32_e64 s[0:1], s33, v17
.Ltmp18:
	.loc	1 23 36                         ; fused_moe_aot.py:23:36 @[ fused_moe_aot.py:163:12 ]
	s_and_b64 s[0:1], vcc, s[0:1]
	.loc	1 24 21                         ; fused_moe_aot.py:24:21 @[ fused_moe_aot.py:163:12 ]
	s_and_saveexec_b64 s[2:3], s[0:1]
	s_cbranch_execz .LBB0_76
; %bb.75:
	.loc	1 22 33                         ; fused_moe_aot.py:22:33 @[ fused_moe_aot.py:163:12 ]
	v_mad_i64_i32 v[18:19], s[0:1], v17, s24, 0
	.loc	1 22 21 is_stmt 0               ; fused_moe_aot.py:22:21 @[ fused_moe_aot.py:163:12 ]
	v_lshlrev_b64 v[18:19], 1, v[18:19]
	v_mov_b32_e32 v17, s11
	v_add_co_u32_e64 v18, s[0:1], s10, v18
	v_addc_co_u32_e64 v17, s[0:1], v17, v19, s[0:1]
	.loc	1 22 55                         ; fused_moe_aot.py:22:55 @[ fused_moe_aot.py:163:12 ]
	v_add_co_u32_e64 v18, s[0:1], v18, v0
	v_addc_co_u32_e64 v19, s[0:1], v17, v1, s[0:1]
	v_mov_b32_e32 v17, 0
	.loc	1 24 21 is_stmt 1               ; fused_moe_aot.py:24:21 @[ fused_moe_aot.py:163:12 ]
	global_store_short v[18:19], v17, off
.Ltmp19:
.LBB0_76:
	.loc	1 0 21 is_stmt 0                ; fused_moe_aot.py:0:21
	s_or_b64 exec, exec, s[2:3]
	.loc	1 146 30 is_stmt 1              ; fused_moe_aot.py:146:30
	v_cmp_gt_i32_e64 s[0:1], s33, v16
.Ltmp20:
	.loc	1 23 36                         ; fused_moe_aot.py:23:36 @[ fused_moe_aot.py:163:12 ]
	s_and_b64 s[0:1], vcc, s[0:1]
	.loc	1 24 21                         ; fused_moe_aot.py:24:21 @[ fused_moe_aot.py:163:12 ]
	s_and_saveexec_b64 s[2:3], s[0:1]
	s_cbranch_execz .LBB0_78
; %bb.77:
	.loc	1 22 33                         ; fused_moe_aot.py:22:33 @[ fused_moe_aot.py:163:12 ]
	v_mad_i64_i32 v[16:17], s[0:1], v16, s24, 0
	.loc	1 22 21 is_stmt 0               ; fused_moe_aot.py:22:21 @[ fused_moe_aot.py:163:12 ]
	v_lshlrev_b64 v[16:17], 1, v[16:17]
	v_mov_b32_e32 v18, s11
	v_add_co_u32_e64 v16, s[0:1], s10, v16
	v_addc_co_u32_e64 v17, s[0:1], v18, v17, s[0:1]
	.loc	1 22 55                         ; fused_moe_aot.py:22:55 @[ fused_moe_aot.py:163:12 ]
	v_add_co_u32_e64 v16, s[0:1], v16, v0
	v_addc_co_u32_e64 v17, s[0:1], v17, v1, s[0:1]
	v_mov_b32_e32 v18, 0
	.loc	1 24 21 is_stmt 1               ; fused_moe_aot.py:24:21 @[ fused_moe_aot.py:163:12 ]
	global_store_short v[16:17], v18, off
.Ltmp21:
.LBB0_78:
	.loc	1 0 21 is_stmt 0                ; fused_moe_aot.py:0:21
	s_or_b64 exec, exec, s[2:3]
	.loc	1 146 30 is_stmt 1              ; fused_moe_aot.py:146:30
	v_cmp_gt_i32_e64 s[0:1], s33, v15
.Ltmp22:
	.loc	1 23 36                         ; fused_moe_aot.py:23:36 @[ fused_moe_aot.py:163:12 ]
	s_and_b64 s[0:1], vcc, s[0:1]
	.loc	1 24 21                         ; fused_moe_aot.py:24:21 @[ fused_moe_aot.py:163:12 ]
	s_and_saveexec_b64 s[2:3], s[0:1]
	s_cbranch_execz .LBB0_80
; %bb.79:
	.loc	1 22 33                         ; fused_moe_aot.py:22:33 @[ fused_moe_aot.py:163:12 ]
	v_mad_i64_i32 v[16:17], s[0:1], v15, s24, 0
	.loc	1 22 21 is_stmt 0               ; fused_moe_aot.py:22:21 @[ fused_moe_aot.py:163:12 ]
	v_lshlrev_b64 v[16:17], 1, v[16:17]
	v_mov_b32_e32 v15, s11
	v_add_co_u32_e64 v16, s[0:1], s10, v16
	v_addc_co_u32_e64 v15, s[0:1], v15, v17, s[0:1]
	.loc	1 22 55                         ; fused_moe_aot.py:22:55 @[ fused_moe_aot.py:163:12 ]
	v_add_co_u32_e64 v16, s[0:1], v16, v0
	v_addc_co_u32_e64 v17, s[0:1], v15, v1, s[0:1]
	v_mov_b32_e32 v15, 0
	.loc	1 24 21 is_stmt 1               ; fused_moe_aot.py:24:21 @[ fused_moe_aot.py:163:12 ]
	global_store_short v[16:17], v15, off
.Ltmp23:
.LBB0_80:
	.loc	1 0 21 is_stmt 0                ; fused_moe_aot.py:0:21
	s_or_b64 exec, exec, s[2:3]
	.loc	1 146 30 is_stmt 1              ; fused_moe_aot.py:146:30
	v_cmp_gt_i32_e64 s[0:1], s33, v14
.Ltmp24:
	.loc	1 23 36                         ; fused_moe_aot.py:23:36 @[ fused_moe_aot.py:163:12 ]
	s_and_b64 s[0:1], vcc, s[0:1]
	.loc	1 24 21                         ; fused_moe_aot.py:24:21 @[ fused_moe_aot.py:163:12 ]
	s_and_saveexec_b64 s[2:3], s[0:1]
	s_cbranch_execz .LBB0_82
; %bb.81:
	.loc	1 22 33                         ; fused_moe_aot.py:22:33 @[ fused_moe_aot.py:163:12 ]
	v_mad_i64_i32 v[14:15], s[0:1], v14, s24, 0
	.loc	1 22 21 is_stmt 0               ; fused_moe_aot.py:22:21 @[ fused_moe_aot.py:163:12 ]
	v_lshlrev_b64 v[14:15], 1, v[14:15]
	v_mov_b32_e32 v16, s11
	v_add_co_u32_e64 v14, s[0:1], s10, v14
	v_addc_co_u32_e64 v15, s[0:1], v16, v15, s[0:1]
	.loc	1 22 55                         ; fused_moe_aot.py:22:55 @[ fused_moe_aot.py:163:12 ]
	v_add_co_u32_e64 v14, s[0:1], v14, v0
	v_addc_co_u32_e64 v15, s[0:1], v15, v1, s[0:1]
	v_mov_b32_e32 v16, 0
	.loc	1 24 21 is_stmt 1               ; fused_moe_aot.py:24:21 @[ fused_moe_aot.py:163:12 ]
	global_store_short v[14:15], v16, off
.Ltmp25:
.LBB0_82:
	.loc	1 0 21 is_stmt 0                ; fused_moe_aot.py:0:21
	s_or_b64 exec, exec, s[2:3]
	.loc	1 146 30 is_stmt 1              ; fused_moe_aot.py:146:30
	v_cmp_gt_i32_e64 s[0:1], s33, v13
.Ltmp26:
	.loc	1 23 36                         ; fused_moe_aot.py:23:36 @[ fused_moe_aot.py:163:12 ]
	s_and_b64 s[0:1], vcc, s[0:1]
	.loc	1 24 21                         ; fused_moe_aot.py:24:21 @[ fused_moe_aot.py:163:12 ]
	s_and_saveexec_b64 s[2:3], s[0:1]
	s_cbranch_execz .LBB0_84
; %bb.83:
	.loc	1 22 33                         ; fused_moe_aot.py:22:33 @[ fused_moe_aot.py:163:12 ]
	v_mad_i64_i32 v[14:15], s[0:1], v13, s24, 0
	.loc	1 22 21 is_stmt 0               ; fused_moe_aot.py:22:21 @[ fused_moe_aot.py:163:12 ]
	v_lshlrev_b64 v[14:15], 1, v[14:15]
	v_mov_b32_e32 v13, s11
	v_add_co_u32_e64 v14, s[0:1], s10, v14
	v_addc_co_u32_e64 v13, s[0:1], v13, v15, s[0:1]
	.loc	1 22 55                         ; fused_moe_aot.py:22:55 @[ fused_moe_aot.py:163:12 ]
	v_add_co_u32_e64 v14, s[0:1], v14, v0
	v_addc_co_u32_e64 v15, s[0:1], v13, v1, s[0:1]
	v_mov_b32_e32 v13, 0
	.loc	1 24 21 is_stmt 1               ; fused_moe_aot.py:24:21 @[ fused_moe_aot.py:163:12 ]
	global_store_short v[14:15], v13, off
.Ltmp27:
.LBB0_84:
	.loc	1 0 21 is_stmt 0                ; fused_moe_aot.py:0:21
	s_or_b64 exec, exec, s[2:3]
	.loc	1 146 30 is_stmt 1              ; fused_moe_aot.py:146:30
	v_cmp_gt_i32_e64 s[0:1], s33, v12
.Ltmp28:
	.loc	1 23 36                         ; fused_moe_aot.py:23:36 @[ fused_moe_aot.py:163:12 ]
	s_and_b64 s[0:1], vcc, s[0:1]
	.loc	1 24 21                         ; fused_moe_aot.py:24:21 @[ fused_moe_aot.py:163:12 ]
	s_and_saveexec_b64 s[2:3], s[0:1]
	s_cbranch_execz .LBB0_86
; %bb.85:
	.loc	1 22 33                         ; fused_moe_aot.py:22:33 @[ fused_moe_aot.py:163:12 ]
	v_mad_i64_i32 v[12:13], s[0:1], v12, s24, 0
	.loc	1 22 21 is_stmt 0               ; fused_moe_aot.py:22:21 @[ fused_moe_aot.py:163:12 ]
	v_lshlrev_b64 v[12:13], 1, v[12:13]
	v_mov_b32_e32 v14, s11
	v_add_co_u32_e64 v12, s[0:1], s10, v12
	v_addc_co_u32_e64 v13, s[0:1], v14, v13, s[0:1]
	.loc	1 22 55                         ; fused_moe_aot.py:22:55 @[ fused_moe_aot.py:163:12 ]
	v_add_co_u32_e64 v12, s[0:1], v12, v0
	v_addc_co_u32_e64 v13, s[0:1], v13, v1, s[0:1]
	v_mov_b32_e32 v14, 0
	.loc	1 24 21 is_stmt 1               ; fused_moe_aot.py:24:21 @[ fused_moe_aot.py:163:12 ]
	global_store_short v[12:13], v14, off
.Ltmp29:
.LBB0_86:
	.loc	1 0 21 is_stmt 0                ; fused_moe_aot.py:0:21
	s_or_b64 exec, exec, s[2:3]
	.loc	1 146 30 is_stmt 1              ; fused_moe_aot.py:146:30
	v_cmp_gt_i32_e64 s[0:1], s33, v11
.Ltmp30:
	.loc	1 23 36                         ; fused_moe_aot.py:23:36 @[ fused_moe_aot.py:163:12 ]
	s_and_b64 s[0:1], vcc, s[0:1]
	.loc	1 24 21                         ; fused_moe_aot.py:24:21 @[ fused_moe_aot.py:163:12 ]
	s_and_saveexec_b64 s[2:3], s[0:1]
	s_cbranch_execz .LBB0_88
; %bb.87:
	.loc	1 22 33                         ; fused_moe_aot.py:22:33 @[ fused_moe_aot.py:163:12 ]
	v_mad_i64_i32 v[12:13], s[0:1], v11, s24, 0
	.loc	1 22 21 is_stmt 0               ; fused_moe_aot.py:22:21 @[ fused_moe_aot.py:163:12 ]
	v_lshlrev_b64 v[12:13], 1, v[12:13]
	v_mov_b32_e32 v11, s11
	v_add_co_u32_e64 v12, s[0:1], s10, v12
	v_addc_co_u32_e64 v11, s[0:1], v11, v13, s[0:1]
	.loc	1 22 55                         ; fused_moe_aot.py:22:55 @[ fused_moe_aot.py:163:12 ]
	v_add_co_u32_e64 v12, s[0:1], v12, v0
	v_addc_co_u32_e64 v13, s[0:1], v11, v1, s[0:1]
	v_mov_b32_e32 v11, 0
	.loc	1 24 21 is_stmt 1               ; fused_moe_aot.py:24:21 @[ fused_moe_aot.py:163:12 ]
	global_store_short v[12:13], v11, off
.Ltmp31:
.LBB0_88:
	.loc	1 0 21 is_stmt 0                ; fused_moe_aot.py:0:21
	s_or_b64 exec, exec, s[2:3]
	.loc	1 146 30 is_stmt 1              ; fused_moe_aot.py:146:30
	v_cmp_gt_i32_e64 s[0:1], s33, v10
.Ltmp32:
	.loc	1 23 36                         ; fused_moe_aot.py:23:36 @[ fused_moe_aot.py:163:12 ]
	s_and_b64 s[0:1], vcc, s[0:1]
	.loc	1 24 21                         ; fused_moe_aot.py:24:21 @[ fused_moe_aot.py:163:12 ]
	s_and_saveexec_b64 s[2:3], s[0:1]
	s_cbranch_execz .LBB0_90
; %bb.89:
	.loc	1 22 33                         ; fused_moe_aot.py:22:33 @[ fused_moe_aot.py:163:12 ]
	v_mad_i64_i32 v[10:11], s[0:1], v10, s24, 0
	.loc	1 22 21 is_stmt 0               ; fused_moe_aot.py:22:21 @[ fused_moe_aot.py:163:12 ]
	v_lshlrev_b64 v[10:11], 1, v[10:11]
	v_mov_b32_e32 v12, s11
	v_add_co_u32_e64 v10, s[0:1], s10, v10
	v_addc_co_u32_e64 v11, s[0:1], v12, v11, s[0:1]
	.loc	1 22 55                         ; fused_moe_aot.py:22:55 @[ fused_moe_aot.py:163:12 ]
	v_add_co_u32_e64 v10, s[0:1], v10, v0
	v_addc_co_u32_e64 v11, s[0:1], v11, v1, s[0:1]
	v_mov_b32_e32 v12, 0
	.loc	1 24 21 is_stmt 1               ; fused_moe_aot.py:24:21 @[ fused_moe_aot.py:163:12 ]
	global_store_short v[10:11], v12, off
.Ltmp33:
.LBB0_90:
	.loc	1 0 21 is_stmt 0                ; fused_moe_aot.py:0:21
	s_or_b64 exec, exec, s[2:3]
	.loc	1 146 30 is_stmt 1              ; fused_moe_aot.py:146:30
	s_waitcnt vmcnt(0)
	v_cmp_gt_i32_e64 s[0:1], s33, v9
.Ltmp34:
	.loc	1 23 36                         ; fused_moe_aot.py:23:36 @[ fused_moe_aot.py:163:12 ]
	s_and_b64 s[0:1], vcc, s[0:1]
	.loc	1 24 21                         ; fused_moe_aot.py:24:21 @[ fused_moe_aot.py:163:12 ]
	s_and_saveexec_b64 s[2:3], s[0:1]
	s_cbranch_execz .LBB0_92
; %bb.91:
	.loc	1 22 33                         ; fused_moe_aot.py:22:33 @[ fused_moe_aot.py:163:12 ]
	v_mad_i64_i32 v[10:11], s[0:1], v9, s24, 0
	.loc	1 22 21 is_stmt 0               ; fused_moe_aot.py:22:21 @[ fused_moe_aot.py:163:12 ]
	v_lshlrev_b64 v[10:11], 1, v[10:11]
	v_mov_b32_e32 v9, s11
	v_add_co_u32_e64 v10, s[0:1], s10, v10
	v_addc_co_u32_e64 v9, s[0:1], v9, v11, s[0:1]
	.loc	1 22 55                         ; fused_moe_aot.py:22:55 @[ fused_moe_aot.py:163:12 ]
	v_add_co_u32_e64 v10, s[0:1], v10, v0
	v_addc_co_u32_e64 v11, s[0:1], v9, v1, s[0:1]
	v_mov_b32_e32 v9, 0
	.loc	1 24 21 is_stmt 1               ; fused_moe_aot.py:24:21 @[ fused_moe_aot.py:163:12 ]
	global_store_short v[10:11], v9, off
.Ltmp35:
.LBB0_92:
	.loc	1 0 21 is_stmt 0                ; fused_moe_aot.py:0:21
	s_or_b64 exec, exec, s[2:3]
	.loc	1 146 30 is_stmt 1              ; fused_moe_aot.py:146:30
	v_cmp_gt_i32_e64 s[0:1], s33, v8
.Ltmp36:
	.loc	1 23 36                         ; fused_moe_aot.py:23:36 @[ fused_moe_aot.py:163:12 ]
	s_and_b64 s[0:1], vcc, s[0:1]
	.loc	1 24 21                         ; fused_moe_aot.py:24:21 @[ fused_moe_aot.py:163:12 ]
	s_and_saveexec_b64 s[2:3], s[0:1]
	s_cbranch_execz .LBB0_94
; %bb.93:
	.loc	1 22 33                         ; fused_moe_aot.py:22:33 @[ fused_moe_aot.py:163:12 ]
	v_mad_i64_i32 v[8:9], s[0:1], v8, s24, 0
	.loc	1 22 21 is_stmt 0               ; fused_moe_aot.py:22:21 @[ fused_moe_aot.py:163:12 ]
	v_lshlrev_b64 v[8:9], 1, v[8:9]
	v_mov_b32_e32 v10, s11
	v_add_co_u32_e64 v8, s[0:1], s10, v8
	v_addc_co_u32_e64 v9, s[0:1], v10, v9, s[0:1]
	.loc	1 22 55                         ; fused_moe_aot.py:22:55 @[ fused_moe_aot.py:163:12 ]
	v_add_co_u32_e64 v8, s[0:1], v8, v0
	v_addc_co_u32_e64 v9, s[0:1], v9, v1, s[0:1]
	v_mov_b32_e32 v10, 0
	.loc	1 24 21 is_stmt 1               ; fused_moe_aot.py:24:21 @[ fused_moe_aot.py:163:12 ]
	global_store_short v[8:9], v10, off
.Ltmp37:
.LBB0_94:
	.loc	1 0 21 is_stmt 0                ; fused_moe_aot.py:0:21
	s_or_b64 exec, exec, s[2:3]
	.loc	1 146 30 is_stmt 1              ; fused_moe_aot.py:146:30
	v_cmp_gt_i32_e64 s[0:1], s33, v7
.Ltmp38:
	.loc	1 23 36                         ; fused_moe_aot.py:23:36 @[ fused_moe_aot.py:163:12 ]
	s_and_b64 s[0:1], vcc, s[0:1]
	.loc	1 24 21                         ; fused_moe_aot.py:24:21 @[ fused_moe_aot.py:163:12 ]
	s_and_saveexec_b64 s[2:3], s[0:1]
	s_cbranch_execz .LBB0_96
; %bb.95:
	.loc	1 22 33                         ; fused_moe_aot.py:22:33 @[ fused_moe_aot.py:163:12 ]
	v_mad_i64_i32 v[8:9], s[0:1], v7, s24, 0
	.loc	1 22 21 is_stmt 0               ; fused_moe_aot.py:22:21 @[ fused_moe_aot.py:163:12 ]
	v_lshlrev_b64 v[8:9], 1, v[8:9]
	v_mov_b32_e32 v7, s11
	v_add_co_u32_e64 v8, s[0:1], s10, v8
	v_addc_co_u32_e64 v7, s[0:1], v7, v9, s[0:1]
	.loc	1 22 55                         ; fused_moe_aot.py:22:55 @[ fused_moe_aot.py:163:12 ]
	v_add_co_u32_e64 v8, s[0:1], v8, v0
	v_addc_co_u32_e64 v9, s[0:1], v7, v1, s[0:1]
	v_mov_b32_e32 v7, 0
	.loc	1 24 21 is_stmt 1               ; fused_moe_aot.py:24:21 @[ fused_moe_aot.py:163:12 ]
	global_store_short v[8:9], v7, off
.Ltmp39:
.LBB0_96:
	.loc	1 0 21 is_stmt 0                ; fused_moe_aot.py:0:21
	s_or_b64 exec, exec, s[2:3]
	.loc	1 146 30 is_stmt 1              ; fused_moe_aot.py:146:30
	v_cmp_gt_i32_e64 s[0:1], s33, v6
.Ltmp40:
	.loc	1 23 36                         ; fused_moe_aot.py:23:36 @[ fused_moe_aot.py:163:12 ]
	s_and_b64 s[0:1], vcc, s[0:1]
	.loc	1 24 21                         ; fused_moe_aot.py:24:21 @[ fused_moe_aot.py:163:12 ]
	s_and_saveexec_b64 s[2:3], s[0:1]
	s_cbranch_execz .LBB0_98
; %bb.97:
	.loc	1 22 33                         ; fused_moe_aot.py:22:33 @[ fused_moe_aot.py:163:12 ]
	v_mad_i64_i32 v[6:7], s[0:1], v6, s24, 0
	.loc	1 22 21 is_stmt 0               ; fused_moe_aot.py:22:21 @[ fused_moe_aot.py:163:12 ]
	v_lshlrev_b64 v[6:7], 1, v[6:7]
	v_mov_b32_e32 v8, s11
	v_add_co_u32_e64 v6, s[0:1], s10, v6
	v_addc_co_u32_e64 v7, s[0:1], v8, v7, s[0:1]
	.loc	1 22 55                         ; fused_moe_aot.py:22:55 @[ fused_moe_aot.py:163:12 ]
	v_add_co_u32_e64 v6, s[0:1], v6, v0
	v_addc_co_u32_e64 v7, s[0:1], v7, v1, s[0:1]
	v_mov_b32_e32 v8, 0
	.loc	1 24 21 is_stmt 1               ; fused_moe_aot.py:24:21 @[ fused_moe_aot.py:163:12 ]
	global_store_short v[6:7], v8, off
.Ltmp41:
.LBB0_98:
	.loc	1 0 21 is_stmt 0                ; fused_moe_aot.py:0:21
	s_or_b64 exec, exec, s[2:3]
	.loc	1 146 30 is_stmt 1              ; fused_moe_aot.py:146:30
	v_cmp_gt_i32_e64 s[0:1], s33, v5
.Ltmp42:
	.loc	1 23 36                         ; fused_moe_aot.py:23:36 @[ fused_moe_aot.py:163:12 ]
	s_and_b64 s[0:1], vcc, s[0:1]
	.loc	1 24 21                         ; fused_moe_aot.py:24:21 @[ fused_moe_aot.py:163:12 ]
	s_and_saveexec_b64 s[2:3], s[0:1]
	s_cbranch_execz .LBB0_100
; %bb.99:
	.loc	1 22 33                         ; fused_moe_aot.py:22:33 @[ fused_moe_aot.py:163:12 ]
	v_mad_i64_i32 v[6:7], s[0:1], v5, s24, 0
	.loc	1 22 21 is_stmt 0               ; fused_moe_aot.py:22:21 @[ fused_moe_aot.py:163:12 ]
	v_lshlrev_b64 v[6:7], 1, v[6:7]
	v_mov_b32_e32 v5, s11
	v_add_co_u32_e64 v6, s[0:1], s10, v6
	v_addc_co_u32_e64 v5, s[0:1], v5, v7, s[0:1]
	.loc	1 22 55                         ; fused_moe_aot.py:22:55 @[ fused_moe_aot.py:163:12 ]
	v_add_co_u32_e64 v6, s[0:1], v6, v0
	v_addc_co_u32_e64 v7, s[0:1], v5, v1, s[0:1]
	v_mov_b32_e32 v5, 0
	.loc	1 24 21 is_stmt 1               ; fused_moe_aot.py:24:21 @[ fused_moe_aot.py:163:12 ]
	global_store_short v[6:7], v5, off
.Ltmp43:
.LBB0_100:
	.loc	1 0 21 is_stmt 0                ; fused_moe_aot.py:0:21
	s_or_b64 exec, exec, s[2:3]
	.loc	1 146 30 is_stmt 1              ; fused_moe_aot.py:146:30
	v_cmp_gt_i32_e64 s[0:1], s33, v4
.Ltmp44:
	.loc	1 23 36                         ; fused_moe_aot.py:23:36 @[ fused_moe_aot.py:163:12 ]
	s_and_b64 s[0:1], vcc, s[0:1]
	.loc	1 24 21                         ; fused_moe_aot.py:24:21 @[ fused_moe_aot.py:163:12 ]
	s_and_saveexec_b64 s[2:3], s[0:1]
	s_cbranch_execz .LBB0_102
; %bb.101:
	.loc	1 22 33                         ; fused_moe_aot.py:22:33 @[ fused_moe_aot.py:163:12 ]
	v_mad_i64_i32 v[4:5], s[0:1], v4, s24, 0
	.loc	1 22 21 is_stmt 0               ; fused_moe_aot.py:22:21 @[ fused_moe_aot.py:163:12 ]
	v_lshlrev_b64 v[4:5], 1, v[4:5]
	v_mov_b32_e32 v6, s11
	v_add_co_u32_e64 v4, s[0:1], s10, v4
	v_addc_co_u32_e64 v5, s[0:1], v6, v5, s[0:1]
	.loc	1 22 55                         ; fused_moe_aot.py:22:55 @[ fused_moe_aot.py:163:12 ]
	v_add_co_u32_e64 v4, s[0:1], v4, v0
	v_addc_co_u32_e64 v5, s[0:1], v5, v1, s[0:1]
	v_mov_b32_e32 v6, 0
	.loc	1 24 21 is_stmt 1               ; fused_moe_aot.py:24:21 @[ fused_moe_aot.py:163:12 ]
	global_store_short v[4:5], v6, off
.Ltmp45:
.LBB0_102:
	.loc	1 0 21 is_stmt 0                ; fused_moe_aot.py:0:21
	s_or_b64 exec, exec, s[2:3]
	.loc	1 146 30 is_stmt 1              ; fused_moe_aot.py:146:30
	v_cmp_gt_i32_e64 s[0:1], s33, v3
.Ltmp46:
	.loc	1 23 36                         ; fused_moe_aot.py:23:36 @[ fused_moe_aot.py:163:12 ]
	s_and_b64 s[0:1], vcc, s[0:1]
	.loc	1 24 21                         ; fused_moe_aot.py:24:21 @[ fused_moe_aot.py:163:12 ]
	s_and_saveexec_b64 s[2:3], s[0:1]
	s_cbranch_execz .LBB0_104
; %bb.103:
	.loc	1 22 33                         ; fused_moe_aot.py:22:33 @[ fused_moe_aot.py:163:12 ]
	v_mad_i64_i32 v[4:5], s[0:1], v3, s24, 0
	.loc	1 22 21 is_stmt 0               ; fused_moe_aot.py:22:21 @[ fused_moe_aot.py:163:12 ]
	v_lshlrev_b64 v[4:5], 1, v[4:5]
	v_mov_b32_e32 v3, s11
	v_add_co_u32_e64 v4, s[0:1], s10, v4
	v_addc_co_u32_e64 v3, s[0:1], v3, v5, s[0:1]
	.loc	1 22 55                         ; fused_moe_aot.py:22:55 @[ fused_moe_aot.py:163:12 ]
	v_add_co_u32_e64 v4, s[0:1], v4, v0
	v_addc_co_u32_e64 v5, s[0:1], v3, v1, s[0:1]
	v_mov_b32_e32 v3, 0
	.loc	1 24 21 is_stmt 1               ; fused_moe_aot.py:24:21 @[ fused_moe_aot.py:163:12 ]
	global_store_short v[4:5], v3, off
.Ltmp47:
.LBB0_104:
	.loc	1 0 21 is_stmt 0                ; fused_moe_aot.py:0:21
	s_or_b64 exec, exec, s[2:3]
	.loc	1 146 30 is_stmt 1              ; fused_moe_aot.py:146:30
	v_cmp_gt_i32_e64 s[0:1], s33, v2
.Ltmp48:
	.loc	1 22 33                         ; fused_moe_aot.py:22:33 @[ fused_moe_aot.py:163:12 ]
	v_mad_i64_i32 v[2:3], s[2:3], v2, s24, 0
	.loc	1 22 21 is_stmt 0               ; fused_moe_aot.py:22:21 @[ fused_moe_aot.py:163:12 ]
	v_lshlrev_b64 v[2:3], 1, v[2:3]
	v_mov_b32_e32 v4, s11
	v_add_co_u32_e64 v2, s[2:3], s10, v2
	v_addc_co_u32_e64 v3, s[2:3], v4, v3, s[2:3]
	.loc	1 22 55                         ; fused_moe_aot.py:22:55 @[ fused_moe_aot.py:163:12 ]
	v_add_co_u32_e64 v0, s[2:3], v2, v0
	v_addc_co_u32_e64 v1, s[2:3], v3, v1, s[2:3]
	.loc	1 23 36 is_stmt 1               ; fused_moe_aot.py:23:36 @[ fused_moe_aot.py:163:12 ]
	s_and_b64 s[0:1], vcc, s[0:1]
	v_mov_b32_e32 v2, 0
	s_and_saveexec_b64 s[2:3], s[0:1]
	s_xor_b64 s[2:3], exec, s[2:3]
	s_cbranch_execnz .LBB0_71
	s_branch .LBB0_72
.Ltmp49:
	.section	.rodata,"a",@progbits
	.p2align	6, 0x0
	.amdhsa_kernel fused_moe_kernel
		.amdhsa_group_segment_fixed_size 0
		.amdhsa_private_segment_fixed_size 0
		.amdhsa_kernarg_size 168
		.amdhsa_user_sgpr_count 16
		.amdhsa_user_sgpr_private_segment_buffer 1
		.amdhsa_user_sgpr_dispatch_ptr 0
		.amdhsa_user_sgpr_queue_ptr 0
		.amdhsa_user_sgpr_kernarg_segment_ptr 1
		.amdhsa_user_sgpr_dispatch_id 0
		.amdhsa_user_sgpr_flat_scratch_init 0
		.amdhsa_user_sgpr_kernarg_preload_length 10
		.amdhsa_user_sgpr_kernarg_preload_offset 0
		.amdhsa_user_sgpr_private_segment_size 0
		.amdhsa_uses_dynamic_stack 0
		.amdhsa_system_sgpr_private_segment_wavefront_offset 0
		.amdhsa_system_sgpr_workgroup_id_x 1
		.amdhsa_system_sgpr_workgroup_id_y 0
		.amdhsa_system_sgpr_workgroup_id_z 0
		.amdhsa_system_sgpr_workgroup_info 0
		.amdhsa_system_vgpr_workitem_id 0
		.amdhsa_next_free_vgpr 98
		.amdhsa_next_free_sgpr 41
		.amdhsa_accum_offset 100
		.amdhsa_reserve_vcc 1
		.amdhsa_reserve_flat_scratch 0
		.amdhsa_reserve_xnack_mask 1
		.amdhsa_float_round_mode_32 0
		.amdhsa_float_round_mode_16_64 0
		.amdhsa_float_denorm_mode_32 3
		.amdhsa_float_denorm_mode_16_64 3
		.amdhsa_dx10_clamp 1
		.amdhsa_ieee_mode 1
		.amdhsa_fp16_overflow 0
		.amdhsa_tg_split 0
		.amdhsa_exception_fp_ieee_invalid_op 0
		.amdhsa_exception_fp_denorm_src 0
		.amdhsa_exception_fp_ieee_div_zero 0
		.amdhsa_exception_fp_ieee_overflow 0
		.amdhsa_exception_fp_ieee_underflow 0
		.amdhsa_exception_fp_ieee_inexact 0
		.amdhsa_exception_int_div_zero 0
	.end_amdhsa_kernel
	.text
.Lfunc_end0:
	.size	fused_moe_kernel, .Lfunc_end0-fused_moe_kernel
	.cfi_endproc
                                        ; -- End function
	.set fused_moe_kernel.num_vgpr, 98
	.set fused_moe_kernel.num_agpr, 0
	.set fused_moe_kernel.numbered_sgpr, 41
	.set fused_moe_kernel.num_named_barrier, 0
	.set fused_moe_kernel.private_seg_size, 0
	.set fused_moe_kernel.uses_vcc, 1
	.set fused_moe_kernel.uses_flat_scratch, 0
	.set fused_moe_kernel.has_dyn_sized_stack, 0
	.set fused_moe_kernel.has_recursion, 0
	.set fused_moe_kernel.has_indirect_call, 0
	.section	.AMDGPU.csdata,"",@progbits
; Kernel info:
; codeLenInByte = 6464
; TotalNumSgprs: 45
; NumVgprs: 98
; NumAgprs: 0
; TotalNumVgprs: 98
; ScratchSize: 0
; MemoryBound: 0
; FloatMode: 240
; IeeeMode: 1
; LDSByteSize: 0 bytes/workgroup (compile time only)
; SGPRBlocks: 5
; VGPRBlocks: 12
; NumSGPRsForWavesPerEU: 45
; NumVGPRsForWavesPerEU: 98
; AccumOffset: 100
; Occupancy: 4
; WaveLimiterHint : 1
; COMPUTE_PGM_RSRC2:SCRATCH_EN: 0
; COMPUTE_PGM_RSRC2:USER_SGPR: 16
; COMPUTE_PGM_RSRC2:TRAP_HANDLER: 0
; COMPUTE_PGM_RSRC2:TGID_X_EN: 1
; COMPUTE_PGM_RSRC2:TGID_Y_EN: 0
; COMPUTE_PGM_RSRC2:TGID_Z_EN: 0
; COMPUTE_PGM_RSRC2:TIDIG_COMP_CNT: 0
; COMPUTE_PGM_RSRC3_GFX90A:ACCUM_OFFSET: 24
; COMPUTE_PGM_RSRC3_GFX90A:TG_SPLIT: 0
	.text
	.p2alignl 6, 3212836864
	.fill 256, 4, 3212836864
	.section	.AMDGPU.gpr_maximums,"",@progbits
	.set amdgpu.max_num_vgpr, 0
	.set amdgpu.max_num_agpr, 0
	.set amdgpu.max_num_sgpr, 0
	.set amdgpu.max_num_named_barrier, 0
	.text
	.section	.debug_abbrev,"",@progbits
	.byte	1                               ; Abbreviation Code
	.byte	17                              ; DW_TAG_compile_unit
	.byte	1                               ; DW_CHILDREN_yes
	.byte	37                              ; DW_AT_producer
	.byte	14                              ; DW_FORM_strp
	.byte	19                              ; DW_AT_language
	.byte	5                               ; DW_FORM_data2
	.byte	3                               ; DW_AT_name
	.byte	14                              ; DW_FORM_strp
	.byte	16                              ; DW_AT_stmt_list
	.byte	23                              ; DW_FORM_sec_offset
	.byte	27                              ; DW_AT_comp_dir
	.byte	14                              ; DW_FORM_strp
	.byte	17                              ; DW_AT_low_pc
	.byte	1                               ; DW_FORM_addr
	.byte	18                              ; DW_AT_high_pc
	.byte	6                               ; DW_FORM_data4
	.byte	0                               ; EOM(1)
	.byte	0                               ; EOM(2)
	.byte	2                               ; Abbreviation Code
	.byte	46                              ; DW_TAG_subprogram
	.byte	0                               ; DW_CHILDREN_no
	.byte	3                               ; DW_AT_name
	.byte	14                              ; DW_FORM_strp
	.byte	32                              ; DW_AT_inline
	.byte	11                              ; DW_FORM_data1
	.byte	0                               ; EOM(1)
	.byte	0                               ; EOM(2)
	.byte	3                               ; Abbreviation Code
	.byte	46                              ; DW_TAG_subprogram
	.byte	1                               ; DW_CHILDREN_yes
	.byte	17                              ; DW_AT_low_pc
	.byte	1                               ; DW_FORM_addr
	.byte	18                              ; DW_AT_high_pc
	.byte	6                               ; DW_FORM_data4
	.byte	49                              ; DW_AT_abstract_origin
	.byte	19                              ; DW_FORM_ref4
	.byte	0                               ; EOM(1)
	.byte	0                               ; EOM(2)
	.byte	4                               ; Abbreviation Code
	.byte	29                              ; DW_TAG_inlined_subroutine
	.byte	0                               ; DW_CHILDREN_no
	.byte	49                              ; DW_AT_abstract_origin
	.byte	19                              ; DW_FORM_ref4
	.byte	17                              ; DW_AT_low_pc
	.byte	1                               ; DW_FORM_addr
	.byte	18                              ; DW_AT_high_pc
	.byte	6                               ; DW_FORM_data4
	.byte	88                              ; DW_AT_call_file
	.byte	11                              ; DW_FORM_data1
	.byte	89                              ; DW_AT_call_line
	.byte	11                              ; DW_FORM_data1
	.byte	87                              ; DW_AT_call_column
	.byte	11                              ; DW_FORM_data1
	.byte	0                               ; EOM(1)
	.byte	0                               ; EOM(2)
	.byte	5                               ; Abbreviation Code
	.byte	29                              ; DW_TAG_inlined_subroutine
	.byte	0                               ; DW_CHILDREN_no
	.byte	49                              ; DW_AT_abstract_origin
	.byte	19                              ; DW_FORM_ref4
	.byte	85                              ; DW_AT_ranges
	.byte	23                              ; DW_FORM_sec_offset
	.byte	88                              ; DW_AT_call_file
	.byte	11                              ; DW_FORM_data1
	.byte	89                              ; DW_AT_call_line
	.byte	11                              ; DW_FORM_data1
	.byte	87                              ; DW_AT_call_column
	.byte	11                              ; DW_FORM_data1
	.byte	0                               ; EOM(1)
	.byte	0                               ; EOM(2)
	;; [unrolled: 1-line block ×3, first 2 shown]
	.section	.debug_info,"",@progbits
.Lcu_begin0:
	.long	.Ldebug_info_end0-.Ldebug_info_start0 ; Length of Unit
.Ldebug_info_start0:
	.short	4                               ; DWARF version number
	.long	.debug_abbrev                   ; Offset Into Abbrev. Section
	.byte	8                               ; Address Size (in bytes)
	.byte	1                               ; Abbrev [1] 0xb:0x70 DW_TAG_compile_unit
	.long	.Linfo_string0                  ; DW_AT_producer
	.short	2                               ; DW_AT_language
	.long	.Linfo_string1                  ; DW_AT_name
	.long	.Lline_table_start0             ; DW_AT_stmt_list
	.long	.Linfo_string2                  ; DW_AT_comp_dir
	.quad	.Lfunc_begin0                   ; DW_AT_low_pc
	.long	.Lfunc_end0-.Lfunc_begin0       ; DW_AT_high_pc
	.byte	2                               ; Abbrev [2] 0x2a:0x6 DW_TAG_subprogram
	.long	.Linfo_string3                  ; DW_AT_name
	.byte	1                               ; DW_AT_inline
	.byte	3                               ; Abbrev [3] 0x30:0x4a DW_TAG_subprogram
	.quad	.Lfunc_begin0                   ; DW_AT_low_pc
	.long	.Lfunc_end0-.Lfunc_begin0       ; DW_AT_high_pc
	.long	42                              ; DW_AT_abstract_origin
	.byte	4                               ; Abbrev [4] 0x41:0x14 DW_TAG_inlined_subroutine
	.long	42                              ; DW_AT_abstract_origin
	.quad	.Ltmp2                          ; DW_AT_low_pc
	.long	.Ltmp3-.Ltmp2                   ; DW_AT_high_pc
	.byte	1                               ; DW_AT_call_file
	.byte	115                             ; DW_AT_call_line
	.byte	27                              ; DW_AT_call_column
	.byte	5                               ; Abbrev [5] 0x55:0xc DW_TAG_inlined_subroutine
	.long	42                              ; DW_AT_abstract_origin
	.long	.Ldebug_ranges0                 ; DW_AT_ranges
	.byte	1                               ; DW_AT_call_file
	.byte	114                             ; DW_AT_call_line
	.byte	28                              ; DW_AT_call_column
	.byte	5                               ; Abbrev [5] 0x61:0xc DW_TAG_inlined_subroutine
	.long	42                              ; DW_AT_abstract_origin
	.long	.Ldebug_ranges1                 ; DW_AT_ranges
	;; [unrolled: 6-line block ×3, first 2 shown]
	.byte	1                               ; DW_AT_call_file
	.byte	163                             ; DW_AT_call_line
	.byte	12                              ; DW_AT_call_column
	.byte	0                               ; End Of Children Mark
	.byte	0                               ; End Of Children Mark
.Ldebug_info_end0:
	.section	.debug_ranges,"",@progbits
.Ldebug_ranges0:
	.quad	.Ltmp4-.Lfunc_begin0
	.quad	.Ltmp5-.Lfunc_begin0
	;; [unrolled: 1-line block ×6, first 2 shown]
	.quad	0
	.quad	0
.Ldebug_ranges1:
	.quad	.Ltmp10-.Lfunc_begin0
	.quad	.Ltmp11-.Lfunc_begin0
	.quad	.Ltmp12-.Lfunc_begin0
	.quad	.Ltmp13-.Lfunc_begin0
	.quad	0
	.quad	0
.Ldebug_ranges2:
	.quad	.Ltmp14-.Lfunc_begin0
	.quad	.Ltmp15-.Lfunc_begin0
	;; [unrolled: 1-line block ×36, first 2 shown]
	.quad	0
	.quad	0
	.section	.debug_str,"MS",@progbits,1
.Linfo_string0:
	.asciz	"triton"                        ; string offset=0
.Linfo_string1:
	.asciz	"fused_moe_aot.py"              ; string offset=7
.Linfo_string2:
	.asciz	"/root/src/amdgpu-assembly/repos/vllm-project__vllm/triton_aot_kernels" ; string offset=24
.Linfo_string3:
	.asciz	"fused_moe_kernel"              ; string offset=94
	.section	".note.GNU-stack","",@progbits
	.amdgpu_metadata
---
amdhsa.kernels:
  - .agpr_count:     0
    .args:
      - .address_space:  global
        .offset:         0
        .size:           8
        .value_kind:     global_buffer
      - .address_space:  global
        .offset:         8
        .size:           8
        .value_kind:     global_buffer
      - .address_space:  global
        .offset:         16
        .size:           8
        .value_kind:     global_buffer
      - .address_space:  global
        .offset:         24
        .size:           8
        .value_kind:     global_buffer
      - .address_space:  global
        .offset:         32
        .size:           8
        .value_kind:     global_buffer
      - .address_space:  global
        .offset:         40
        .size:           8
        .value_kind:     global_buffer
      - .address_space:  global
        .offset:         48
        .size:           8
        .value_kind:     global_buffer
      - .address_space:  global
        .offset:         56
        .size:           8
        .value_kind:     global_buffer
      - .address_space:  global
        .offset:         64
        .size:           8
        .value_kind:     global_buffer
      - .address_space:  global
        .offset:         72
        .size:           8
        .value_kind:     global_buffer
      - .offset:         80
        .size:           4
        .value_kind:     by_value
      - .offset:         84
        .size:           4
        .value_kind:     by_value
      - .offset:         88
        .size:           4
        .value_kind:     by_value
      - .offset:         92
        .size:           4
        .value_kind:     by_value
      - .offset:         96
        .size:           4
        .value_kind:     by_value
      - .offset:         100
        .size:           4
        .value_kind:     by_value
      - .offset:         104
        .size:           4
        .value_kind:     by_value
      - .offset:         108
        .size:           4
        .value_kind:     by_value
      - .offset:         112
        .size:           4
        .value_kind:     by_value
      - .offset:         116
        .size:           4
        .value_kind:     by_value
      - .offset:         120
        .size:           4
        .value_kind:     by_value
      - .offset:         124
        .size:           4
        .value_kind:     by_value
      - .offset:         128
        .size:           4
        .value_kind:     by_value
      - .offset:         132
        .size:           4
        .value_kind:     by_value
      - .offset:         136
        .size:           4
        .value_kind:     by_value
      - .offset:         140
        .size:           4
        .value_kind:     by_value
      - .offset:         144
        .size:           4
        .value_kind:     by_value
      - .offset:         148
        .size:           4
        .value_kind:     by_value
      - .address_space:  global
        .offset:         152
        .size:           8
        .value_kind:     global_buffer
      - .address_space:  global
        .offset:         160
        .size:           8
        .value_kind:     global_buffer
    .group_segment_fixed_size: 0
    .kernarg_segment_align: 8
    .kernarg_segment_size: 168
    .max_flat_workgroup_size: 256
    .name:           fused_moe_kernel
    .private_segment_fixed_size: 0
    .sgpr_count:     45
    .sgpr_spill_count: 0
    .symbol:         fused_moe_kernel.kd
    .uniform_work_group_size: 1
    .uses_dynamic_stack: false
    .vgpr_count:     98
    .vgpr_spill_count: 0
    .wavefront_size: 64
amdhsa.target:   amdgcn-amd-amdhsa--gfx90a
amdhsa.version:
  - 1
  - 2
...

	.end_amdgpu_metadata
	.section	.debug_line,"",@progbits
.Lline_table_start0:
